;; amdgpu-corpus repo=ROCm/rocFFT kind=compiled arch=gfx906 opt=O3
	.text
	.amdgcn_target "amdgcn-amd-amdhsa--gfx906"
	.amdhsa_code_object_version 6
	.protected	fft_rtc_back_len400_factors_4_10_10_wgs_120_tpt_40_halfLds_half_op_CI_CI_unitstride_sbrr_C2R_dirReg ; -- Begin function fft_rtc_back_len400_factors_4_10_10_wgs_120_tpt_40_halfLds_half_op_CI_CI_unitstride_sbrr_C2R_dirReg
	.globl	fft_rtc_back_len400_factors_4_10_10_wgs_120_tpt_40_halfLds_half_op_CI_CI_unitstride_sbrr_C2R_dirReg
	.p2align	8
	.type	fft_rtc_back_len400_factors_4_10_10_wgs_120_tpt_40_halfLds_half_op_CI_CI_unitstride_sbrr_C2R_dirReg,@function
fft_rtc_back_len400_factors_4_10_10_wgs_120_tpt_40_halfLds_half_op_CI_CI_unitstride_sbrr_C2R_dirReg: ; @fft_rtc_back_len400_factors_4_10_10_wgs_120_tpt_40_halfLds_half_op_CI_CI_unitstride_sbrr_C2R_dirReg
; %bb.0:
	v_mul_u32_u24_e32 v1, 0x667, v0
	s_load_dwordx4 s[8:11], s[4:5], 0x58
	s_load_dwordx4 s[12:15], s[4:5], 0x0
	;; [unrolled: 1-line block ×3, first 2 shown]
	v_lshrrev_b32_e32 v1, 16, v1
	v_mad_u64_u32 v[8:9], s[0:1], s6, 3, v[1:2]
	v_mov_b32_e32 v10, 0
	s_waitcnt lgkmcnt(0)
	v_cmp_lt_u64_e64 s[0:1], s[14:15], 2
	v_mov_b32_e32 v6, 0
	v_mov_b32_e32 v9, v10
	;; [unrolled: 1-line block ×5, first 2 shown]
	s_and_b64 vcc, exec, s[0:1]
	v_mov_b32_e32 v2, v7
	v_mov_b32_e32 v4, v9
	s_cbranch_vccnz .LBB0_8
; %bb.1:
	s_load_dwordx2 s[0:1], s[4:5], 0x10
	s_add_u32 s2, s18, 8
	s_addc_u32 s3, s19, 0
	s_add_u32 s6, s16, 8
	s_addc_u32 s7, s17, 0
	v_mov_b32_e32 v6, 0
	s_waitcnt lgkmcnt(0)
	s_add_u32 s20, s0, 8
	v_mov_b32_e32 v7, 0
	v_mov_b32_e32 v1, v6
	;; [unrolled: 1-line block ×3, first 2 shown]
	s_addc_u32 s21, s1, 0
	s_mov_b64 s[22:23], 1
	v_mov_b32_e32 v2, v7
	v_mov_b32_e32 v12, v8
.LBB0_2:                                ; =>This Inner Loop Header: Depth=1
	s_load_dwordx2 s[24:25], s[20:21], 0x0
                                        ; implicit-def: $vgpr3_vgpr4
	s_waitcnt lgkmcnt(0)
	v_or_b32_e32 v11, s25, v13
	v_cmp_ne_u64_e32 vcc, 0, v[10:11]
	s_and_saveexec_b64 s[0:1], vcc
	s_xor_b64 s[26:27], exec, s[0:1]
	s_cbranch_execz .LBB0_4
; %bb.3:                                ;   in Loop: Header=BB0_2 Depth=1
	v_cvt_f32_u32_e32 v3, s24
	v_cvt_f32_u32_e32 v4, s25
	s_sub_u32 s0, 0, s24
	s_subb_u32 s1, 0, s25
	v_mac_f32_e32 v3, 0x4f800000, v4
	v_rcp_f32_e32 v3, v3
	v_mul_f32_e32 v3, 0x5f7ffffc, v3
	v_mul_f32_e32 v4, 0x2f800000, v3
	v_trunc_f32_e32 v4, v4
	v_mac_f32_e32 v3, 0xcf800000, v4
	v_cvt_u32_f32_e32 v4, v4
	v_cvt_u32_f32_e32 v3, v3
	v_mul_lo_u32 v5, s0, v4
	v_mul_hi_u32 v9, s0, v3
	v_mul_lo_u32 v14, s1, v3
	v_mul_lo_u32 v11, s0, v3
	v_add_u32_e32 v5, v9, v5
	v_add_u32_e32 v5, v5, v14
	v_mul_hi_u32 v9, v3, v11
	v_mul_lo_u32 v14, v3, v5
	v_mul_hi_u32 v16, v3, v5
	v_mul_hi_u32 v15, v4, v11
	v_mul_lo_u32 v11, v4, v11
	v_mul_hi_u32 v17, v4, v5
	v_add_co_u32_e32 v9, vcc, v9, v14
	v_addc_co_u32_e32 v14, vcc, 0, v16, vcc
	v_mul_lo_u32 v5, v4, v5
	v_add_co_u32_e32 v9, vcc, v9, v11
	v_addc_co_u32_e32 v9, vcc, v14, v15, vcc
	v_addc_co_u32_e32 v11, vcc, 0, v17, vcc
	v_add_co_u32_e32 v5, vcc, v9, v5
	v_addc_co_u32_e32 v9, vcc, 0, v11, vcc
	v_add_co_u32_e32 v3, vcc, v3, v5
	v_addc_co_u32_e32 v4, vcc, v4, v9, vcc
	v_mul_lo_u32 v5, s0, v4
	v_mul_hi_u32 v9, s0, v3
	v_mul_lo_u32 v11, s1, v3
	v_mul_lo_u32 v14, s0, v3
	v_add_u32_e32 v5, v9, v5
	v_add_u32_e32 v5, v5, v11
	v_mul_lo_u32 v15, v3, v5
	v_mul_hi_u32 v16, v3, v14
	v_mul_hi_u32 v17, v3, v5
	;; [unrolled: 1-line block ×3, first 2 shown]
	v_mul_lo_u32 v14, v4, v14
	v_mul_hi_u32 v9, v4, v5
	v_add_co_u32_e32 v15, vcc, v16, v15
	v_addc_co_u32_e32 v16, vcc, 0, v17, vcc
	v_mul_lo_u32 v5, v4, v5
	v_add_co_u32_e32 v14, vcc, v15, v14
	v_addc_co_u32_e32 v11, vcc, v16, v11, vcc
	v_addc_co_u32_e32 v9, vcc, 0, v9, vcc
	v_add_co_u32_e32 v5, vcc, v11, v5
	v_addc_co_u32_e32 v9, vcc, 0, v9, vcc
	v_add_co_u32_e32 v5, vcc, v3, v5
	v_addc_co_u32_e32 v9, vcc, v4, v9, vcc
	v_mad_u64_u32 v[3:4], s[0:1], v12, v9, 0
	v_mul_hi_u32 v11, v12, v5
	v_mad_u64_u32 v[14:15], s[0:1], v13, v9, 0
	v_add_co_u32_e32 v11, vcc, v11, v3
	v_addc_co_u32_e32 v16, vcc, 0, v4, vcc
	v_mad_u64_u32 v[3:4], s[0:1], v13, v5, 0
	v_add_co_u32_e32 v3, vcc, v11, v3
	v_addc_co_u32_e32 v3, vcc, v16, v4, vcc
	v_addc_co_u32_e32 v4, vcc, 0, v15, vcc
	v_add_co_u32_e32 v5, vcc, v3, v14
	v_addc_co_u32_e32 v9, vcc, 0, v4, vcc
	v_mul_lo_u32 v11, s25, v5
	v_mul_lo_u32 v14, s24, v9
	v_mad_u64_u32 v[3:4], s[0:1], s24, v5, 0
	v_add3_u32 v4, v4, v14, v11
	v_sub_u32_e32 v11, v13, v4
	v_mov_b32_e32 v14, s25
	v_sub_co_u32_e32 v3, vcc, v12, v3
	v_subb_co_u32_e64 v11, s[0:1], v11, v14, vcc
	v_subrev_co_u32_e64 v14, s[0:1], s24, v3
	v_subbrev_co_u32_e64 v11, s[0:1], 0, v11, s[0:1]
	v_cmp_le_u32_e64 s[0:1], s25, v11
	v_cndmask_b32_e64 v15, 0, -1, s[0:1]
	v_cmp_le_u32_e64 s[0:1], s24, v14
	v_cndmask_b32_e64 v14, 0, -1, s[0:1]
	v_cmp_eq_u32_e64 s[0:1], s25, v11
	v_cndmask_b32_e64 v11, v15, v14, s[0:1]
	v_add_co_u32_e64 v14, s[0:1], 2, v5
	v_addc_co_u32_e64 v15, s[0:1], 0, v9, s[0:1]
	v_add_co_u32_e64 v16, s[0:1], 1, v5
	v_addc_co_u32_e64 v17, s[0:1], 0, v9, s[0:1]
	v_subb_co_u32_e32 v4, vcc, v13, v4, vcc
	v_cmp_ne_u32_e64 s[0:1], 0, v11
	v_cmp_le_u32_e32 vcc, s25, v4
	v_cndmask_b32_e64 v11, v17, v15, s[0:1]
	v_cndmask_b32_e64 v15, 0, -1, vcc
	v_cmp_le_u32_e32 vcc, s24, v3
	v_cndmask_b32_e64 v3, 0, -1, vcc
	v_cmp_eq_u32_e32 vcc, s25, v4
	v_cndmask_b32_e32 v3, v15, v3, vcc
	v_cmp_ne_u32_e32 vcc, 0, v3
	v_cndmask_b32_e64 v3, v16, v14, s[0:1]
	v_cndmask_b32_e32 v4, v9, v11, vcc
	v_cndmask_b32_e32 v3, v5, v3, vcc
.LBB0_4:                                ;   in Loop: Header=BB0_2 Depth=1
	s_andn2_saveexec_b64 s[0:1], s[26:27]
	s_cbranch_execz .LBB0_6
; %bb.5:                                ;   in Loop: Header=BB0_2 Depth=1
	v_cvt_f32_u32_e32 v3, s24
	s_sub_i32 s26, 0, s24
	v_rcp_iflag_f32_e32 v3, v3
	v_mul_f32_e32 v3, 0x4f7ffffe, v3
	v_cvt_u32_f32_e32 v3, v3
	v_mul_lo_u32 v4, s26, v3
	v_mul_hi_u32 v4, v3, v4
	v_add_u32_e32 v3, v3, v4
	v_mul_hi_u32 v3, v12, v3
	v_mul_lo_u32 v4, v3, s24
	v_add_u32_e32 v5, 1, v3
	v_sub_u32_e32 v4, v12, v4
	v_subrev_u32_e32 v9, s24, v4
	v_cmp_le_u32_e32 vcc, s24, v4
	v_cndmask_b32_e32 v4, v4, v9, vcc
	v_cndmask_b32_e32 v3, v3, v5, vcc
	v_add_u32_e32 v5, 1, v3
	v_cmp_le_u32_e32 vcc, s24, v4
	v_cndmask_b32_e32 v3, v3, v5, vcc
	v_mov_b32_e32 v4, v10
.LBB0_6:                                ;   in Loop: Header=BB0_2 Depth=1
	s_or_b64 exec, exec, s[0:1]
	v_mul_lo_u32 v5, v4, s24
	v_mul_lo_u32 v9, v3, s25
	v_mad_u64_u32 v[14:15], s[0:1], v3, s24, 0
	s_load_dwordx2 s[0:1], s[6:7], 0x0
	s_load_dwordx2 s[24:25], s[2:3], 0x0
	v_add3_u32 v5, v15, v9, v5
	v_sub_co_u32_e32 v9, vcc, v12, v14
	v_subb_co_u32_e32 v5, vcc, v13, v5, vcc
	s_waitcnt lgkmcnt(0)
	v_mul_lo_u32 v11, s0, v5
	v_mul_lo_u32 v12, s1, v9
	v_mad_u64_u32 v[6:7], s[0:1], s0, v9, v[6:7]
	s_add_u32 s22, s22, 1
	s_addc_u32 s23, s23, 0
	s_add_u32 s2, s2, 8
	v_mul_lo_u32 v5, s24, v5
	v_mul_lo_u32 v13, s25, v9
	v_mad_u64_u32 v[1:2], s[0:1], s24, v9, v[1:2]
	v_add3_u32 v7, v12, v7, v11
	s_addc_u32 s3, s3, 0
	v_mov_b32_e32 v11, s14
	s_add_u32 s6, s6, 8
	v_mov_b32_e32 v12, s15
	s_addc_u32 s7, s7, 0
	v_cmp_ge_u64_e32 vcc, s[22:23], v[11:12]
	s_add_u32 s20, s20, 8
	v_add3_u32 v2, v13, v2, v5
	s_addc_u32 s21, s21, 0
	s_cbranch_vccnz .LBB0_8
; %bb.7:                                ;   in Loop: Header=BB0_2 Depth=1
	v_mov_b32_e32 v13, v4
	v_mov_b32_e32 v12, v3
	s_branch .LBB0_2
.LBB0_8:
	s_mov_b32 s2, 0xaaaaaaab
	s_load_dwordx2 s[0:1], s[4:5], 0x28
	v_mul_hi_u32 v5, v8, s2
	s_lshl_b64 s[6:7], s[14:15], 3
	s_add_u32 s2, s18, s6
	s_addc_u32 s3, s19, s7
	v_lshrrev_b32_e32 v5, 1, v5
	v_lshl_add_u32 v5, v5, 1, v5
	s_waitcnt lgkmcnt(0)
	v_cmp_gt_u64_e32 vcc, s[0:1], v[3:4]
	v_cmp_le_u64_e64 s[0:1], s[0:1], v[3:4]
	v_sub_u32_e32 v8, v8, v5
                                        ; implicit-def: $vgpr5
	s_and_saveexec_b64 s[4:5], s[0:1]
	s_xor_b64 s[0:1], exec, s[4:5]
; %bb.9:
	s_mov_b32 s4, 0x6666667
	v_mul_hi_u32 v5, v0, s4
                                        ; implicit-def: $vgpr6_vgpr7
	v_mul_u32_u24_e32 v5, 40, v5
	v_sub_u32_e32 v5, v0, v5
                                        ; implicit-def: $vgpr0
; %bb.10:
	s_or_saveexec_b64 s[4:5], s[0:1]
	s_load_dwordx2 s[2:3], s[2:3], 0x0
	v_mul_u32_u24_e32 v8, 0x191, v8
	v_lshlrev_b32_e32 v15, 2, v8
	s_xor_b64 exec, exec, s[4:5]
	s_cbranch_execz .LBB0_14
; %bb.11:
	s_add_u32 s0, s16, s6
	s_addc_u32 s1, s17, s7
	s_load_dwordx2 s[0:1], s[0:1], 0x0
	s_mov_b32 s6, 0x6666667
	v_mul_hi_u32 v5, v0, s6
	v_lshlrev_b64 v[6:7], 2, v[6:7]
	s_waitcnt lgkmcnt(0)
	v_mul_lo_u32 v11, s1, v3
	v_mul_lo_u32 v12, s0, v4
	v_mad_u64_u32 v[9:10], s[0:1], s0, v3, 0
	v_mul_u32_u24_e32 v5, 40, v5
	v_sub_u32_e32 v5, v0, v5
	v_add3_u32 v10, v10, v12, v11
	v_lshlrev_b64 v[9:10], 2, v[9:10]
	v_mov_b32_e32 v0, s9
	v_add_co_u32_e64 v9, s[0:1], s8, v9
	v_addc_co_u32_e64 v0, s[0:1], v0, v10, s[0:1]
	v_add_co_u32_e64 v6, s[0:1], v9, v6
	v_addc_co_u32_e64 v7, s[0:1], v0, v7, s[0:1]
	v_lshlrev_b32_e32 v0, 2, v5
	v_add_co_u32_e64 v9, s[0:1], v6, v0
	v_addc_co_u32_e64 v10, s[0:1], 0, v7, s[0:1]
	global_load_dword v11, v[9:10], off
	global_load_dword v12, v[9:10], off offset:160
	global_load_dword v13, v[9:10], off offset:320
	;; [unrolled: 1-line block ×9, first 2 shown]
	v_add3_u32 v0, 0, v15, v0
	v_cmp_eq_u32_e64 s[0:1], 39, v5
	v_add_u32_e32 v9, 0x200, v0
	v_add_u32_e32 v10, 0x400, v0
	s_waitcnt vmcnt(8)
	ds_write2_b32 v0, v11, v12 offset1:40
	s_waitcnt vmcnt(6)
	ds_write2_b32 v0, v13, v14 offset0:80 offset1:120
	s_waitcnt vmcnt(4)
	ds_write2_b32 v0, v16, v17 offset0:160 offset1:200
	s_waitcnt vmcnt(2)
	ds_write2_b32 v9, v18, v19 offset0:112 offset1:152
	s_waitcnt vmcnt(0)
	ds_write2_b32 v10, v20, v21 offset0:64 offset1:104
	s_and_saveexec_b64 s[6:7], s[0:1]
	s_cbranch_execz .LBB0_13
; %bb.12:
	global_load_dword v5, v[6:7], off offset:1600
	s_waitcnt vmcnt(0)
	ds_write_b32 v0, v5 offset:1444
	v_mov_b32_e32 v5, 39
.LBB0_13:
	s_or_b64 exec, exec, s[6:7]
.LBB0_14:
	s_or_b64 exec, exec, s[4:5]
	v_lshl_add_u32 v0, v8, 2, 0
	v_lshlrev_b32_e32 v6, 2, v5
	v_add_u32_e32 v13, v0, v6
	s_waitcnt lgkmcnt(0)
	s_barrier
	v_sub_u32_e32 v8, v0, v6
	ds_read_u16 v11, v13
	ds_read_u16 v12, v8 offset:1600
	v_cmp_ne_u32_e64 s[0:1], 0, v5
                                        ; implicit-def: $vgpr6_vgpr7
	s_waitcnt lgkmcnt(0)
	v_add_f16_e32 v9, v12, v11
	v_sub_f16_e32 v10, v11, v12
	s_and_saveexec_b64 s[4:5], s[0:1]
	s_xor_b64 s[4:5], exec, s[4:5]
	s_cbranch_execz .LBB0_16
; %bb.15:
	v_mov_b32_e32 v6, 0
	v_lshlrev_b64 v[9:10], 2, v[5:6]
	v_mov_b32_e32 v7, s13
	v_add_co_u32_e64 v9, s[0:1], s12, v9
	v_addc_co_u32_e64 v10, s[0:1], v7, v10, s[0:1]
	global_load_dword v7, v[9:10], off offset:1584
	ds_read_u16 v9, v8 offset:1602
	ds_read_u16 v10, v13 offset:2
	v_add_f16_e32 v14, v12, v11
	v_sub_f16_e32 v11, v11, v12
	s_waitcnt lgkmcnt(0)
	v_add_f16_e32 v12, v9, v10
	v_sub_f16_e32 v9, v10, v9
	s_waitcnt vmcnt(0)
	v_lshrrev_b32_e32 v10, 16, v7
	v_fma_f16 v16, v11, v10, v14
	v_fma_f16 v17, v12, v10, v9
	v_fma_f16 v14, -v11, v10, v14
	v_fma_f16 v18, v12, v10, -v9
	v_fma_f16 v9, -v7, v12, v16
	v_fma_f16 v10, v11, v7, v17
	v_fma_f16 v12, v7, v12, v14
	;; [unrolled: 1-line block ×3, first 2 shown]
	v_pack_b32_f16 v7, v12, v7
	ds_write_b32 v8, v7 offset:1600
	v_mov_b32_e32 v7, v6
	v_mov_b32_e32 v6, v5
.LBB0_16:
	s_andn2_saveexec_b64 s[0:1], s[4:5]
	s_cbranch_execz .LBB0_18
; %bb.17:
	ds_read_b32 v6, v0 offset:800
	s_mov_b32 s4, 0xc0004000
	s_waitcnt lgkmcnt(0)
	v_pk_mul_f16 v11, v6, s4
	v_mov_b32_e32 v6, 0
	v_mov_b32_e32 v7, 0
	ds_write_b32 v0, v11 offset:800
.LBB0_18:
	s_or_b64 exec, exec, s[0:1]
	s_add_u32 s0, s12, 0x630
	v_lshlrev_b64 v[6:7], 2, v[6:7]
	s_addc_u32 s1, s13, 0
	v_mov_b32_e32 v11, s1
	v_add_co_u32_e64 v6, s[0:1], s0, v6
	v_addc_co_u32_e64 v7, s[0:1], v11, v7, s[0:1]
	global_load_dword v11, v[6:7], off offset:160
	global_load_dword v12, v[6:7], off offset:320
	;; [unrolled: 1-line block ×4, first 2 shown]
	s_mov_b32 s0, 0x5040100
	v_perm_b32 v6, v10, v9, s0
	ds_write_b32 v13, v6
	ds_read_b32 v6, v13 offset:160
	ds_read_b32 v7, v8 offset:1440
	s_waitcnt lgkmcnt(0)
	v_add_f16_e32 v9, v6, v7
	v_add_f16_sdwa v10, v7, v6 dst_sel:DWORD dst_unused:UNUSED_PAD src0_sel:WORD_1 src1_sel:WORD_1
	v_sub_f16_e32 v16, v6, v7
	v_sub_f16_sdwa v6, v6, v7 dst_sel:DWORD dst_unused:UNUSED_PAD src0_sel:WORD_1 src1_sel:WORD_1
	s_waitcnt vmcnt(3)
	v_lshrrev_b32_e32 v7, 16, v11
	v_fma_f16 v18, v16, v7, v9
	v_fma_f16 v19, v10, v7, v6
	v_fma_f16 v9, -v16, v7, v9
	v_fma_f16 v6, v10, v7, -v6
	v_fma_f16 v7, -v11, v10, v18
	v_fma_f16 v18, v16, v11, v19
	v_fma_f16 v9, v11, v10, v9
	;; [unrolled: 1-line block ×3, first 2 shown]
	v_pack_b32_f16 v7, v7, v18
	v_pack_b32_f16 v6, v9, v6
	ds_write_b32 v13, v7 offset:160
	ds_write_b32 v8, v6 offset:1440
	ds_read_b32 v6, v13 offset:320
	ds_read_b32 v7, v8 offset:1280
	s_waitcnt vmcnt(2)
	v_lshrrev_b32_e32 v9, 16, v12
	s_waitcnt lgkmcnt(0)
	v_add_f16_e32 v10, v6, v7
	v_add_f16_sdwa v11, v7, v6 dst_sel:DWORD dst_unused:UNUSED_PAD src0_sel:WORD_1 src1_sel:WORD_1
	v_sub_f16_e32 v16, v6, v7
	v_sub_f16_sdwa v6, v6, v7 dst_sel:DWORD dst_unused:UNUSED_PAD src0_sel:WORD_1 src1_sel:WORD_1
	v_fma_f16 v7, v16, v9, v10
	v_fma_f16 v18, v11, v9, v6
	v_fma_f16 v10, -v16, v9, v10
	v_fma_f16 v6, v11, v9, -v6
	v_fma_f16 v7, -v12, v11, v7
	v_fma_f16 v9, v16, v12, v18
	v_fma_f16 v10, v12, v11, v10
	;; [unrolled: 1-line block ×3, first 2 shown]
	v_pack_b32_f16 v7, v7, v9
	v_pack_b32_f16 v6, v10, v6
	ds_write_b32 v13, v7 offset:320
	ds_write_b32 v8, v6 offset:1280
	ds_read_b32 v6, v13 offset:480
	ds_read_b32 v7, v8 offset:1120
	s_waitcnt vmcnt(1)
	v_lshrrev_b32_e32 v10, 16, v14
	v_lshl_add_u32 v9, v5, 2, 0
	v_add_u32_e32 v12, v9, v15
	v_lshlrev_b32_e32 v18, 4, v5
	s_waitcnt lgkmcnt(0)
	v_add_f16_e32 v11, v6, v7
	v_add_f16_sdwa v16, v7, v6 dst_sel:DWORD dst_unused:UNUSED_PAD src0_sel:WORD_1 src1_sel:WORD_1
	v_sub_f16_e32 v19, v6, v7
	v_sub_f16_sdwa v6, v6, v7 dst_sel:DWORD dst_unused:UNUSED_PAD src0_sel:WORD_1 src1_sel:WORD_1
	v_fma_f16 v7, v19, v10, v11
	v_fma_f16 v20, v16, v10, v6
	v_fma_f16 v11, -v19, v10, v11
	v_fma_f16 v6, v16, v10, -v6
	v_fma_f16 v7, -v14, v16, v7
	v_fma_f16 v10, v19, v14, v20
	v_fma_f16 v11, v14, v16, v11
	v_fma_f16 v6, v19, v14, v6
	v_pack_b32_f16 v7, v7, v10
	v_pack_b32_f16 v6, v11, v6
	ds_write_b32 v13, v7 offset:480
	ds_write_b32 v8, v6 offset:1120
	ds_read_b32 v6, v13 offset:640
	ds_read_b32 v7, v8 offset:960
	v_mad_u32_u24 v16, v5, 12, v9
	s_waitcnt vmcnt(0)
	v_lshrrev_b32_e32 v9, 16, v17
	v_add_u32_e32 v10, 0x200, v12
	v_add_u32_e32 v14, 0x400, v12
	s_waitcnt lgkmcnt(0)
	v_add_f16_e32 v11, v6, v7
	v_add_f16_sdwa v19, v7, v6 dst_sel:DWORD dst_unused:UNUSED_PAD src0_sel:WORD_1 src1_sel:WORD_1
	v_sub_f16_e32 v20, v6, v7
	v_sub_f16_sdwa v6, v6, v7 dst_sel:DWORD dst_unused:UNUSED_PAD src0_sel:WORD_1 src1_sel:WORD_1
	v_fma_f16 v7, v20, v9, v11
	v_fma_f16 v21, v19, v9, v6
	v_fma_f16 v11, -v20, v9, v11
	v_fma_f16 v6, v19, v9, -v6
	v_fma_f16 v7, -v17, v19, v7
	v_fma_f16 v9, v20, v17, v21
	v_fma_f16 v11, v17, v19, v11
	v_fma_f16 v6, v20, v17, v6
	v_pack_b32_f16 v7, v7, v9
	v_pack_b32_f16 v6, v11, v6
	ds_write_b32 v13, v7 offset:640
	ds_write_b32 v8, v6 offset:960
	s_waitcnt lgkmcnt(0)
	s_barrier
	s_barrier
	ds_read2_b32 v[6:7], v12 offset0:40 offset1:80
	ds_read2_b32 v[8:9], v12 offset0:180 offset1:200
	ds_read_b32 v17, v12 offset:1520
	ds_read_b32 v23, v13
	ds_read2_b32 v[19:20], v12 offset0:100 offset1:140
	ds_read2_b32 v[21:22], v14 offset0:44 offset1:84
	;; [unrolled: 1-line block ×3, first 2 shown]
	v_add_u32_e32 v24, v16, v15
	s_waitcnt lgkmcnt(3)
	v_pk_add_f16 v9, v23, v9 neg_lo:[0,1] neg_hi:[0,1]
	v_alignbit_b32 v27, s0, v9, 16
	s_waitcnt lgkmcnt(1)
	v_pk_add_f16 v21, v19, v21 neg_lo:[0,1] neg_hi:[0,1]
	v_alignbit_b32 v25, s0, v21, 16
	s_waitcnt lgkmcnt(0)
	v_pk_add_f16 v10, v6, v10 neg_lo:[0,1] neg_hi:[0,1]
	v_pk_fma_f16 v23, v23, 2.0, v9 op_sel_hi:[1,0,1] neg_lo:[0,0,1] neg_hi:[0,0,1]
	v_pk_fma_f16 v19, v19, 2.0, v21 op_sel_hi:[1,0,1] neg_lo:[0,0,1] neg_hi:[0,0,1]
	v_lshrrev_b32_e32 v26, 16, v9
	v_pk_add_f16 v21, v27, v21 neg_lo:[0,1] neg_hi:[0,1]
	v_pk_add_f16 v25, v9, v25
	v_pk_add_f16 v22, v20, v22 neg_lo:[0,1] neg_hi:[0,1]
	v_pk_add_f16 v19, v23, v19 neg_lo:[0,1] neg_hi:[0,1]
	v_fma_f16 v9, v9, 2.0, -v25
	v_fma_f16 v26, v26, 2.0, -v21
	v_alignbit_b32 v27, s0, v22, 16
	v_alignbit_b32 v28, s0, v10, 16
	v_pk_fma_f16 v6, v6, 2.0, v10 op_sel_hi:[1,0,1] neg_lo:[0,0,1] neg_hi:[0,0,1]
	v_pk_fma_f16 v23, v23, 2.0, v19 op_sel_hi:[1,0,1] neg_lo:[0,0,1] neg_hi:[0,0,1]
	;; [unrolled: 1-line block ×3, first 2 shown]
	v_pk_add_f16 v27, v10, v27
	v_pk_add_f16 v22, v28, v22 neg_lo:[0,1] neg_hi:[0,1]
	v_lshrrev_b32_e32 v28, 16, v10
	v_pack_b32_f16 v9, v9, v26
	v_pk_add_f16 v20, v6, v20 neg_lo:[0,1] neg_hi:[0,1]
	v_fma_f16 v10, v10, 2.0, -v27
	v_fma_f16 v28, v28, 2.0, -v22
	s_barrier
	ds_write2_b32 v24, v23, v9 offset1:1
	v_pack_b32_f16 v9, v25, v21
	v_add3_u32 v18, v18, 0, v15
	v_pk_fma_f16 v6, v6, 2.0, v20 op_sel_hi:[1,0,1] neg_lo:[0,0,1] neg_hi:[0,0,1]
	ds_write2_b32 v24, v19, v9 offset0:2 offset1:3
	v_pack_b32_f16 v9, v10, v28
	ds_write2_b32 v18, v6, v9 offset0:160 offset1:161
	v_pack_b32_f16 v6, v27, v22
	v_cmp_gt_u32_e64 s[0:1], 20, v5
	ds_write2_b32 v18, v20, v6 offset0:162 offset1:163
	s_and_saveexec_b64 s[4:5], s[0:1]
	s_cbranch_execz .LBB0_20
; %bb.19:
	v_pk_add_f16 v9, v8, v17 neg_lo:[0,1] neg_hi:[0,1]
	v_pk_add_f16 v6, v7, v11 neg_lo:[0,1] neg_hi:[0,1]
	v_alignbit_b32 v10, s0, v9, 16
	v_pk_add_f16 v10, v6, v10
	v_alignbit_b32 v19, s0, v6, 16
	v_fma_f16 v11, v6, 2.0, -v10
	v_lshrrev_b32_e32 v17, 16, v6
	v_pk_add_f16 v19, v19, v9 neg_lo:[0,1] neg_hi:[0,1]
	v_pk_fma_f16 v6, v7, 2.0, v6 op_sel_hi:[1,0,1] neg_lo:[0,0,1] neg_hi:[0,0,1]
	v_pk_fma_f16 v7, v8, 2.0, v9 op_sel_hi:[1,0,1] neg_lo:[0,0,1] neg_hi:[0,0,1]
	v_fma_f16 v17, v17, 2.0, -v19
	v_pk_add_f16 v7, v6, v7 neg_lo:[0,1] neg_hi:[0,1]
	v_add_u32_e32 v20, 0x500, v18
	v_pk_fma_f16 v6, v6, 2.0, v7 op_sel_hi:[1,0,1] neg_lo:[0,0,1] neg_hi:[0,0,1]
	v_pack_b32_f16 v8, v11, v17
	ds_write2_b32 v20, v6, v8 offset1:1
	v_add_u32_e32 v6, 0x508, v18
	v_pack_b32_f16 v8, v10, v19
	ds_write2_b32 v6, v7, v8 offset1:1
.LBB0_20:
	s_or_b64 exec, exec, s[4:5]
	v_and_b32_e32 v11, 3, v5
	v_mul_u32_u24_e32 v6, 9, v11
	v_lshlrev_b32_e32 v6, 2, v6
	s_waitcnt lgkmcnt(0)
	s_barrier
	global_load_dwordx4 v[7:10], v6, s[12:13]
	global_load_dwordx4 v[17:20], v6, s[12:13] offset:16
	global_load_dword v29, v6, s[12:13] offset:32
	v_mul_i32_i24_e32 v6, -12, v5
	v_add3_u32 v6, v16, v6, v15
	ds_read2_b32 v[21:22], v12 offset0:200 offset1:240
	ds_read_b32 v30, v12 offset:1120
	ds_read_b32 v31, v13
	ds_read2_b32 v[23:24], v6 offset0:40 offset1:80
	ds_read2_b32 v[25:26], v6 offset0:120 offset1:160
	v_add_u32_e32 v32, 0x400, v6
	ds_read2_b32 v[27:28], v32 offset0:64 offset1:104
	s_waitcnt lgkmcnt(5)
	v_lshrrev_b32_e32 v16, 16, v22
	s_waitcnt lgkmcnt(2)
	v_lshrrev_b32_e32 v35, 16, v23
	v_lshrrev_b32_e32 v36, 16, v24
	s_waitcnt lgkmcnt(1)
	v_lshrrev_b32_e32 v38, 16, v26
	v_lshrrev_b32_e32 v34, 16, v30
	;; [unrolled: 1-line block ×3, first 2 shown]
	s_waitcnt lgkmcnt(0)
	v_lshrrev_b32_e32 v39, 16, v27
	v_lshrrev_b32_e32 v33, 16, v21
	;; [unrolled: 1-line block ×3, first 2 shown]
	s_mov_b32 s6, 0xbb9c
	s_movk_i32 s1, 0x3b9c
	s_mov_b32 s4, 0xb8b4
	s_movk_i32 s0, 0x38b4
	s_movk_i32 s5, 0x34f2
	s_mov_b32 s8, 0xb4f2
	s_mov_b32 s9, 0xba79
	s_movk_i32 s7, 0x3a79
	s_waitcnt vmcnt(0)
	s_barrier
	v_mul_f16_sdwa v41, v7, v35 dst_sel:DWORD dst_unused:UNUSED_PAD src0_sel:WORD_1 src1_sel:DWORD
	v_mul_f16_sdwa v42, v7, v23 dst_sel:DWORD dst_unused:UNUSED_PAD src0_sel:WORD_1 src1_sel:DWORD
	;; [unrolled: 1-line block ×5, first 2 shown]
	v_fma_f16 v23, v7, v23, v41
	v_mul_f16_sdwa v41, v10, v26 dst_sel:DWORD dst_unused:UNUSED_PAD src0_sel:WORD_1 src1_sel:DWORD
	v_mul_f16_sdwa v45, v9, v37 dst_sel:DWORD dst_unused:UNUSED_PAD src0_sel:WORD_1 src1_sel:DWORD
	;; [unrolled: 1-line block ×3, first 2 shown]
	v_fma_f16 v24, v8, v24, v43
	v_fma_f16 v26, v10, v26, v47
	v_mul_f16_sdwa v47, v16, v18 dst_sel:DWORD dst_unused:UNUSED_PAD src0_sel:DWORD src1_sel:WORD_1
	v_fma_f16 v7, v7, v35, -v42
	v_mul_f16_sdwa v35, v22, v18 dst_sel:DWORD dst_unused:UNUSED_PAD src0_sel:DWORD src1_sel:WORD_1
	v_fma_f16 v8, v8, v36, -v44
	v_mul_f16_sdwa v36, v34, v19 dst_sel:DWORD dst_unused:UNUSED_PAD src0_sel:DWORD src1_sel:WORD_1
	v_fma_f16 v10, v10, v38, -v41
	v_mul_f16_sdwa v38, v27, v20 dst_sel:DWORD dst_unused:UNUSED_PAD src0_sel:DWORD src1_sel:WORD_1
	v_mul_f16_sdwa v41, v39, v20 dst_sel:DWORD dst_unused:UNUSED_PAD src0_sel:DWORD src1_sel:WORD_1
	v_mul_f16_sdwa v43, v17, v33 dst_sel:DWORD dst_unused:UNUSED_PAD src0_sel:WORD_1 src1_sel:DWORD
	v_fma_f16 v25, v9, v25, v45
	v_mul_f16_sdwa v45, v17, v21 dst_sel:DWORD dst_unused:UNUSED_PAD src0_sel:WORD_1 src1_sel:DWORD
	v_fma_f16 v9, v9, v37, -v46
	v_mul_f16_sdwa v37, v30, v19 dst_sel:DWORD dst_unused:UNUSED_PAD src0_sel:DWORD src1_sel:WORD_1
	v_mul_f16_sdwa v42, v40, v29 dst_sel:DWORD dst_unused:UNUSED_PAD src0_sel:DWORD src1_sel:WORD_1
	v_mul_f16_sdwa v44, v28, v29 dst_sel:DWORD dst_unused:UNUSED_PAD src0_sel:DWORD src1_sel:WORD_1
	v_fma_f16 v22, v22, v18, v47
	v_fma_f16 v16, v16, v18, -v35
	v_fma_f16 v18, v30, v19, v36
	v_fma_f16 v30, v39, v20, -v38
	v_fma_f16 v20, v27, v20, v41
	v_fma_f16 v21, v17, v21, v43
	v_fma_f16 v17, v17, v33, -v45
	v_fma_f16 v19, v34, v19, -v37
	v_fma_f16 v27, v28, v29, v42
	v_fma_f16 v28, v40, v29, -v44
	v_sub_f16_e32 v29, v24, v26
	v_sub_f16_e32 v33, v20, v22
	;; [unrolled: 1-line block ×4, first 2 shown]
	v_add_f16_e32 v36, v26, v22
	v_add_f16_e32 v37, v24, v20
	v_sub_f16_e32 v38, v8, v30
	v_sub_f16_e32 v39, v10, v16
	v_add_f16_e32 v29, v29, v33
	v_add_f16_e32 v33, v34, v35
	v_fma_f16 v34, v36, -0.5, v31
	v_fma_f16 v35, v37, -0.5, v31
	v_fma_f16 v36, v38, s6, v34
	v_fma_f16 v34, v38, s1, v34
	;; [unrolled: 1-line block ×12, first 2 shown]
	v_add_f16_e32 v35, v31, v24
	v_add_f16_e32 v35, v35, v26
	;; [unrolled: 1-line block ×4, first 2 shown]
	v_sub_f16_e32 v20, v24, v20
	v_sub_f16_e32 v22, v26, v22
	;; [unrolled: 1-line block ×4, first 2 shown]
	v_add_f16_e32 v24, v24, v26
	v_lshrrev_b32_e32 v26, 16, v31
	v_add_f16_e32 v31, v10, v16
	v_fma_f16 v31, v31, -0.5, v26
	v_fma_f16 v37, v20, s1, v31
	v_fma_f16 v31, v20, s6, v31
	;; [unrolled: 1-line block ×6, first 2 shown]
	v_add_f16_e32 v31, v8, v30
	v_fma_f16 v31, v31, -0.5, v26
	v_add_f16_e32 v26, v26, v8
	v_add_f16_e32 v26, v26, v10
	v_sub_f16_e32 v8, v10, v8
	v_add_f16_e32 v10, v26, v16
	v_sub_f16_e32 v16, v16, v30
	v_add_f16_e32 v8, v8, v16
	v_fma_f16 v16, v22, s6, v31
	v_fma_f16 v22, v22, s1, v31
	;; [unrolled: 1-line block ×6, first 2 shown]
	v_sub_f16_e32 v20, v25, v21
	v_sub_f16_e32 v22, v27, v18
	v_add_f16_e32 v20, v20, v22
	v_add_f16_e32 v22, v21, v18
	v_fma_f16 v22, v22, -0.5, v23
	v_sub_f16_e32 v26, v9, v28
	v_add_f16_e32 v10, v10, v30
	v_fma_f16 v30, v26, s6, v22
	v_sub_f16_e32 v31, v17, v19
	v_fma_f16 v22, v26, s1, v22
	v_fma_f16 v30, v31, s4, v30
	;; [unrolled: 1-line block ×5, first 2 shown]
	v_sub_f16_e32 v22, v21, v25
	v_sub_f16_e32 v38, v18, v27
	v_add_f16_e32 v22, v22, v38
	v_add_f16_e32 v38, v25, v27
	v_fma_f16 v38, v38, -0.5, v23
	v_fma_f16 v39, v31, s1, v38
	v_fma_f16 v31, v31, s6, v38
	v_add_f16_e32 v23, v23, v25
	v_fma_f16 v38, v26, s4, v39
	v_fma_f16 v26, v26, s0, v31
	v_add_f16_e32 v23, v23, v21
	;; [unrolled: 3-line block ×3, first 2 shown]
	v_sub_f16_e32 v18, v21, v18
	v_sub_f16_e32 v21, v9, v17
	;; [unrolled: 1-line block ×3, first 2 shown]
	v_add_f16_e32 v21, v21, v26
	v_add_f16_e32 v26, v17, v19
	v_sub_f16_e32 v25, v25, v27
	v_fma_f16 v26, v26, -0.5, v7
	v_add_f16_e32 v23, v23, v27
	v_fma_f16 v27, v25, s1, v26
	v_fma_f16 v26, v25, s6, v26
	;; [unrolled: 1-line block ×6, first 2 shown]
	v_add_f16_e32 v26, v9, v28
	v_fma_f16 v26, v26, -0.5, v7
	v_add_f16_e32 v7, v7, v9
	v_add_f16_e32 v7, v7, v17
	v_sub_f16_e32 v9, v17, v9
	v_sub_f16_e32 v17, v19, v28
	v_add_f16_e32 v9, v9, v17
	v_fma_f16 v17, v18, s6, v26
	v_fma_f16 v18, v18, s1, v26
	;; [unrolled: 1-line block ×6, first 2 shown]
	v_mul_f16_e32 v26, 0xbb9c, v9
	v_mul_f16_e32 v9, 0xb4f2, v9
	;; [unrolled: 1-line block ×4, first 2 shown]
	v_fma_f16 v26, v22, s8, v26
	v_fma_f16 v9, v22, s1, v9
	v_mul_f16_e32 v22, 0xb8b4, v21
	v_mul_f16_e32 v21, 0xba79, v21
	v_add_f16_e32 v7, v7, v19
	v_mul_f16_e32 v18, 0xb8b4, v27
	v_mul_f16_e32 v19, 0x3a79, v27
	v_fma_f16 v17, v31, s1, v17
	v_fma_f16 v22, v20, s9, v22
	;; [unrolled: 1-line block ×5, first 2 shown]
	v_add_f16_e32 v30, v33, v26
	v_sub_f16_e32 v26, v33, v26
	v_add_f16_e32 v33, v16, v17
	v_sub_f16_e32 v16, v16, v17
	;; [unrolled: 2-line block ×4, first 2 shown]
	v_lshrrev_b32_e32 v24, 2, v5
	v_mul_u32_u24_e32 v24, 40, v24
	v_add_f16_e32 v7, v7, v28
	v_or_b32_e32 v11, v24, v11
	v_fma_f16 v25, v31, s5, v25
	v_add_f16_e32 v21, v35, v23
	v_sub_f16_e32 v23, v35, v23
	v_add_f16_e32 v31, v29, v22
	v_sub_f16_e32 v22, v29, v22
	;; [unrolled: 2-line block ×3, first 2 shown]
	v_lshlrev_b32_e32 v11, 2, v11
	v_add_f16_e32 v27, v36, v18
	v_sub_f16_e32 v18, v36, v18
	v_add_f16_e32 v28, v34, v25
	v_sub_f16_e32 v25, v34, v25
	;; [unrolled: 2-line block ×3, first 2 shown]
	v_add3_u32 v11, 0, v11, v15
	v_pack_b32_f16 v9, v31, v9
	v_pack_b32_f16 v7, v23, v7
	ds_write2_b32 v11, v9, v7 offset0:16 offset1:20
	v_pack_b32_f16 v7, v18, v19
	v_pack_b32_f16 v9, v25, v16
	;; [unrolled: 1-line block ×4, first 2 shown]
	ds_write2_b32 v11, v7, v9 offset0:24 offset1:28
	v_pack_b32_f16 v7, v26, v8
	v_pack_b32_f16 v8, v22, v20
	ds_write2_b32 v11, v15, v10 offset1:4
	v_pack_b32_f16 v10, v28, v33
	v_pack_b32_f16 v15, v30, v17
	ds_write2_b32 v11, v7, v8 offset0:32 offset1:36
	v_mul_u32_u24_e32 v7, 9, v5
	ds_write2_b32 v11, v10, v15 offset0:8 offset1:12
	v_lshlrev_b32_e32 v11, 2, v7
	s_waitcnt lgkmcnt(0)
	s_barrier
	global_load_dwordx4 v[7:10], v11, s[12:13] offset:144
	global_load_dwordx4 v[15:18], v11, s[12:13] offset:160
	global_load_dword v25, v11, s[12:13] offset:176
	ds_read2_b32 v[19:20], v6 offset0:40 offset1:80
	ds_read2_b32 v[21:22], v6 offset0:120 offset1:160
	;; [unrolled: 1-line block ×3, first 2 shown]
	ds_read_b32 v28, v12 offset:1120
	ds_read_b32 v13, v13
	s_waitcnt lgkmcnt(4)
	v_lshrrev_b32_e32 v11, 16, v19
	s_waitcnt lgkmcnt(1)
	v_lshrrev_b32_e32 v29, 16, v28
	s_waitcnt vmcnt(2)
	v_mul_f16_sdwa v26, v7, v11 dst_sel:DWORD dst_unused:UNUSED_PAD src0_sel:WORD_1 src1_sel:DWORD
	v_fma_f16 v26, v7, v19, v26
	v_mul_f16_sdwa v19, v7, v19 dst_sel:DWORD dst_unused:UNUSED_PAD src0_sel:WORD_1 src1_sel:DWORD
	v_fma_f16 v11, v7, v11, -v19
	v_lshrrev_b32_e32 v7, 16, v20
	v_mul_f16_sdwa v19, v8, v7 dst_sel:DWORD dst_unused:UNUSED_PAD src0_sel:WORD_1 src1_sel:DWORD
	v_fma_f16 v19, v8, v20, v19
	v_mul_f16_sdwa v20, v8, v20 dst_sel:DWORD dst_unused:UNUSED_PAD src0_sel:WORD_1 src1_sel:DWORD
	v_fma_f16 v20, v8, v7, -v20
	v_lshrrev_b32_e32 v7, 16, v21
	;; [unrolled: 5-line block ×4, first 2 shown]
	s_waitcnt vmcnt(1)
	v_mul_f16_sdwa v8, v15, v7 dst_sel:DWORD dst_unused:UNUSED_PAD src0_sel:WORD_1 src1_sel:DWORD
	v_lshrrev_b32_e32 v22, 16, v24
	v_fma_f16 v30, v15, v23, v8
	v_mul_f16_sdwa v8, v15, v23 dst_sel:DWORD dst_unused:UNUSED_PAD src0_sel:WORD_1 src1_sel:DWORD
	v_fma_f16 v15, v15, v7, -v8
	v_mul_f16_sdwa v7, v22, v16 dst_sel:DWORD dst_unused:UNUSED_PAD src0_sel:DWORD src1_sel:WORD_1
	v_fma_f16 v23, v24, v16, v7
	ds_read2_b32 v[7:8], v32 offset0:64 offset1:104
	v_mul_f16_sdwa v24, v24, v16 dst_sel:DWORD dst_unused:UNUSED_PAD src0_sel:DWORD src1_sel:WORD_1
	v_fma_f16 v16, v22, v16, -v24
	v_mul_f16_sdwa v22, v29, v17 dst_sel:DWORD dst_unused:UNUSED_PAD src0_sel:DWORD src1_sel:WORD_1
	v_mul_f16_sdwa v24, v28, v17 dst_sel:DWORD dst_unused:UNUSED_PAD src0_sel:DWORD src1_sel:WORD_1
	v_fma_f16 v22, v28, v17, v22
	v_fma_f16 v17, v29, v17, -v24
	s_waitcnt lgkmcnt(0)
	v_lshrrev_b32_e32 v24, 16, v7
	v_mul_f16_sdwa v28, v7, v18 dst_sel:DWORD dst_unused:UNUSED_PAD src0_sel:DWORD src1_sel:WORD_1
	v_fma_f16 v28, v24, v18, -v28
	v_mul_f16_sdwa v24, v24, v18 dst_sel:DWORD dst_unused:UNUSED_PAD src0_sel:DWORD src1_sel:WORD_1
	v_fma_f16 v7, v7, v18, v24
	v_lshrrev_b32_e32 v18, 16, v8
	s_waitcnt vmcnt(0)
	v_mul_f16_sdwa v24, v18, v25 dst_sel:DWORD dst_unused:UNUSED_PAD src0_sel:DWORD src1_sel:WORD_1
	v_fma_f16 v24, v8, v25, v24
	v_mul_f16_sdwa v8, v8, v25 dst_sel:DWORD dst_unused:UNUSED_PAD src0_sel:DWORD src1_sel:WORD_1
	v_fma_f16 v8, v18, v25, -v8
	v_add_f16_e32 v18, v21, v23
	v_fma_f16 v18, v18, -0.5, v13
	v_sub_f16_e32 v25, v20, v28
	v_sub_f16_e32 v29, v19, v21
	;; [unrolled: 1-line block ×3, first 2 shown]
	v_add_f16_e32 v29, v29, v31
	v_fma_f16 v31, v25, s6, v18
	v_sub_f16_e32 v32, v10, v16
	v_fma_f16 v18, v25, s1, v18
	v_fma_f16 v31, v32, s4, v31
	;; [unrolled: 1-line block ×5, first 2 shown]
	v_sub_f16_e32 v29, v21, v19
	v_sub_f16_e32 v33, v23, v7
	v_add_f16_e32 v29, v29, v33
	v_add_f16_e32 v33, v19, v7
	v_fma_f16 v33, v33, -0.5, v13
	v_fma_f16 v34, v32, s1, v33
	v_fma_f16 v32, v32, s6, v33
	;; [unrolled: 1-line block ×6, first 2 shown]
	v_add_f16_e32 v29, v13, v19
	v_add_f16_e32 v29, v29, v21
	;; [unrolled: 1-line block ×4, first 2 shown]
	v_sub_f16_e32 v7, v19, v7
	v_sub_f16_e32 v19, v21, v23
	;; [unrolled: 1-line block ×4, first 2 shown]
	v_add_f16_e32 v21, v21, v23
	v_lshrrev_b32_e32 v13, 16, v13
	v_add_f16_e32 v23, v10, v16
	v_fma_f16 v23, v23, -0.5, v13
	v_fma_f16 v33, v7, s1, v23
	v_fma_f16 v23, v7, s6, v23
	;; [unrolled: 1-line block ×6, first 2 shown]
	v_add_f16_e32 v23, v20, v28
	v_fma_f16 v23, v23, -0.5, v13
	v_add_f16_e32 v13, v13, v20
	v_add_f16_e32 v13, v13, v10
	v_sub_f16_e32 v10, v10, v20
	v_add_f16_e32 v13, v13, v16
	v_sub_f16_e32 v16, v16, v28
	v_add_f16_e32 v10, v10, v16
	v_fma_f16 v16, v19, s6, v23
	v_fma_f16 v19, v19, s1, v23
	;; [unrolled: 1-line block ×6, first 2 shown]
	v_add_f16_e32 v10, v30, v22
	v_sub_f16_e32 v19, v27, v30
	v_sub_f16_e32 v20, v24, v22
	v_fma_f16 v10, v10, -0.5, v26
	v_add_f16_e32 v19, v19, v20
	v_sub_f16_e32 v20, v9, v8
	v_add_f16_e32 v13, v13, v28
	v_fma_f16 v23, v20, s6, v10
	v_sub_f16_e32 v28, v15, v17
	v_fma_f16 v10, v20, s1, v10
	v_fma_f16 v23, v28, s4, v23
	v_fma_f16 v10, v28, s0, v10
	v_fma_f16 v23, v19, s5, v23
	v_fma_f16 v10, v19, s5, v10
	v_sub_f16_e32 v19, v30, v27
	v_sub_f16_e32 v34, v22, v24
	v_add_f16_e32 v19, v19, v34
	v_add_f16_e32 v34, v27, v24
	v_fma_f16 v34, v34, -0.5, v26
	v_fma_f16 v35, v28, s1, v34
	v_fma_f16 v28, v28, s6, v34
	;; [unrolled: 1-line block ×6, first 2 shown]
	v_add_f16_e32 v20, v26, v27
	v_add_f16_e32 v20, v20, v30
	;; [unrolled: 1-line block ×4, first 2 shown]
	v_sub_f16_e32 v24, v27, v24
	v_sub_f16_e32 v26, v9, v15
	;; [unrolled: 1-line block ×3, first 2 shown]
	v_add_f16_e32 v26, v26, v27
	v_add_f16_e32 v27, v15, v17
	v_fma_f16 v27, v27, -0.5, v11
	v_sub_f16_e32 v22, v30, v22
	v_fma_f16 v30, v24, s1, v27
	v_fma_f16 v27, v24, s6, v27
	;; [unrolled: 1-line block ×6, first 2 shown]
	v_add_f16_e32 v27, v9, v8
	v_fma_f16 v27, v27, -0.5, v11
	v_add_f16_e32 v11, v11, v9
	v_add_f16_e32 v11, v11, v15
	;; [unrolled: 1-line block ×3, first 2 shown]
	v_sub_f16_e32 v9, v15, v9
	v_add_f16_e32 v11, v11, v8
	v_sub_f16_e32 v8, v17, v8
	v_add_f16_e32 v8, v9, v8
	v_fma_f16 v9, v22, s6, v27
	v_fma_f16 v15, v22, s1, v27
	;; [unrolled: 1-line block ×6, first 2 shown]
	v_mul_f16_e32 v17, 0xb8b4, v30
	v_mul_f16_e32 v24, 0x3a79, v30
	v_mul_f16_e32 v27, 0xbb9c, v8
	v_mul_f16_e32 v8, 0xb4f2, v8
	v_fma_f16 v17, v23, s7, v17
	v_fma_f16 v23, v23, s0, v24
	v_mul_f16_e32 v24, 0xbb9c, v9
	v_mul_f16_e32 v9, 0x34f2, v9
	v_fma_f16 v27, v19, s8, v27
	v_fma_f16 v8, v19, s1, v8
	v_mul_f16_e32 v19, 0xb8b4, v26
	v_mul_f16_e32 v26, 0xba79, v26
	v_add_f16_e32 v15, v29, v20
	v_add_f16_e32 v22, v31, v17
	v_fma_f16 v24, v28, s5, v24
	v_fma_f16 v9, v28, s1, v9
	v_fma_f16 v19, v10, s9, v19
	v_fma_f16 v10, v10, s0, v26
	v_add_f16_e32 v28, v25, v27
	v_add_f16_e32 v30, v13, v11
	v_sub_f16_e32 v25, v25, v27
	v_add_f16_e32 v27, v33, v23
	v_add_f16_e32 v26, v32, v24
	v_sub_f16_e32 v20, v29, v20
	v_sub_f16_e32 v17, v31, v17
	v_add_f16_e32 v29, v18, v19
	v_sub_f16_e32 v18, v18, v19
	v_add_f16_e32 v19, v16, v9
	;; [unrolled: 2-line block ×3, first 2 shown]
	v_add_f16_e32 v31, v21, v10
	v_sub_f16_e32 v7, v7, v8
	v_sub_f16_e32 v8, v21, v10
	v_pack_b32_f16 v10, v15, v30
	v_pack_b32_f16 v15, v22, v27
	v_sub_f16_e32 v24, v32, v24
	v_sub_f16_e32 v9, v16, v9
	s_barrier
	ds_write2_b32 v12, v10, v15 offset1:40
	v_pack_b32_f16 v10, v26, v19
	v_sub_f16_e32 v23, v33, v23
	ds_write_b32 v12, v10 offset:320
	v_pack_b32_f16 v10, v28, v13
	v_pack_b32_f16 v13, v29, v31
	;; [unrolled: 1-line block ×4, first 2 shown]
	ds_write2_b32 v6, v10, v13 offset0:120 offset1:160
	v_pack_b32_f16 v10, v20, v11
	v_pack_b32_f16 v11, v17, v23
	ds_write2_b32 v14, v9, v7 offset0:24 offset1:64
	v_pack_b32_f16 v7, v18, v8
	ds_write2_b32 v12, v10, v11 offset0:200 offset1:240
	ds_write_b32 v6, v7 offset:1440
	s_waitcnt lgkmcnt(0)
	s_barrier
	s_and_saveexec_b64 s[0:1], vcc
	s_cbranch_execz .LBB0_22
; %bb.21:
	v_mul_lo_u32 v6, s3, v3
	v_mul_lo_u32 v7, s2, v4
	v_mad_u64_u32 v[3:4], s[0:1], s2, v3, 0
	v_lshl_add_u32 v9, v5, 2, v0
	v_mov_b32_e32 v0, s11
	v_add3_u32 v4, v4, v7, v6
	v_lshlrev_b64 v[3:4], 2, v[3:4]
	v_mov_b32_e32 v6, 0
	v_add_co_u32_e32 v3, vcc, s10, v3
	v_addc_co_u32_e32 v4, vcc, v0, v4, vcc
	v_lshlrev_b64 v[0:1], 2, v[1:2]
	ds_read2_b32 v[7:8], v9 offset1:40
	v_add_co_u32_e32 v10, vcc, v3, v0
	v_addc_co_u32_e32 v4, vcc, v4, v1, vcc
	v_lshlrev_b64 v[0:1], 2, v[5:6]
	ds_read2_b32 v[2:3], v9 offset0:80 offset1:120
	v_add_co_u32_e32 v0, vcc, v10, v0
	v_addc_co_u32_e32 v1, vcc, v4, v1, vcc
	s_waitcnt lgkmcnt(1)
	global_store_dword v[0:1], v7, off
	v_add_u32_e32 v0, 40, v5
	v_mov_b32_e32 v1, v6
	v_lshlrev_b64 v[0:1], 2, v[0:1]
	v_add_co_u32_e32 v0, vcc, v10, v0
	v_addc_co_u32_e32 v1, vcc, v4, v1, vcc
	global_store_dword v[0:1], v8, off
	v_add_u32_e32 v0, 0x50, v5
	v_mov_b32_e32 v1, v6
	v_lshlrev_b64 v[0:1], 2, v[0:1]
	v_add_co_u32_e32 v0, vcc, v10, v0
	v_addc_co_u32_e32 v1, vcc, v4, v1, vcc
	s_waitcnt lgkmcnt(0)
	global_store_dword v[0:1], v2, off
	v_add_u32_e32 v0, 0x78, v5
	v_mov_b32_e32 v1, v6
	v_lshlrev_b64 v[0:1], 2, v[0:1]
	v_add_co_u32_e32 v0, vcc, v10, v0
	v_addc_co_u32_e32 v1, vcc, v4, v1, vcc
	global_store_dword v[0:1], v3, off
	v_add_u32_e32 v0, 0xa0, v5
	v_mov_b32_e32 v1, v6
	ds_read2_b32 v[2:3], v9 offset0:160 offset1:200
	v_lshlrev_b64 v[0:1], 2, v[0:1]
	v_add_co_u32_e32 v0, vcc, v10, v0
	v_addc_co_u32_e32 v1, vcc, v4, v1, vcc
	s_waitcnt lgkmcnt(0)
	global_store_dword v[0:1], v2, off
	v_add_u32_e32 v0, 0xc8, v5
	v_mov_b32_e32 v1, v6
	v_lshlrev_b64 v[0:1], 2, v[0:1]
	v_add_u32_e32 v2, 0x200, v9
	v_add_co_u32_e32 v0, vcc, v10, v0
	v_addc_co_u32_e32 v1, vcc, v4, v1, vcc
	global_store_dword v[0:1], v3, off
	v_add_u32_e32 v0, 0xf0, v5
	v_mov_b32_e32 v1, v6
	ds_read2_b32 v[2:3], v2 offset0:112 offset1:152
	v_lshlrev_b64 v[0:1], 2, v[0:1]
	v_add_co_u32_e32 v0, vcc, v10, v0
	v_addc_co_u32_e32 v1, vcc, v4, v1, vcc
	s_waitcnt lgkmcnt(0)
	global_store_dword v[0:1], v2, off
	v_add_u32_e32 v0, 0x118, v5
	v_mov_b32_e32 v1, v6
	v_lshlrev_b64 v[0:1], 2, v[0:1]
	v_add_u32_e32 v2, 0x400, v9
	v_add_co_u32_e32 v0, vcc, v10, v0
	v_addc_co_u32_e32 v1, vcc, v4, v1, vcc
	global_store_dword v[0:1], v3, off
	v_add_u32_e32 v0, 0x140, v5
	v_mov_b32_e32 v1, v6
	ds_read2_b32 v[2:3], v2 offset0:64 offset1:104
	v_lshlrev_b64 v[0:1], 2, v[0:1]
	v_add_u32_e32 v5, 0x168, v5
	v_add_co_u32_e32 v0, vcc, v10, v0
	v_addc_co_u32_e32 v1, vcc, v4, v1, vcc
	s_waitcnt lgkmcnt(0)
	global_store_dword v[0:1], v2, off
	v_lshlrev_b64 v[0:1], 2, v[5:6]
	v_add_co_u32_e32 v0, vcc, v10, v0
	v_addc_co_u32_e32 v1, vcc, v4, v1, vcc
	global_store_dword v[0:1], v3, off
.LBB0_22:
	s_endpgm
	.section	.rodata,"a",@progbits
	.p2align	6, 0x0
	.amdhsa_kernel fft_rtc_back_len400_factors_4_10_10_wgs_120_tpt_40_halfLds_half_op_CI_CI_unitstride_sbrr_C2R_dirReg
		.amdhsa_group_segment_fixed_size 0
		.amdhsa_private_segment_fixed_size 0
		.amdhsa_kernarg_size 104
		.amdhsa_user_sgpr_count 6
		.amdhsa_user_sgpr_private_segment_buffer 1
		.amdhsa_user_sgpr_dispatch_ptr 0
		.amdhsa_user_sgpr_queue_ptr 0
		.amdhsa_user_sgpr_kernarg_segment_ptr 1
		.amdhsa_user_sgpr_dispatch_id 0
		.amdhsa_user_sgpr_flat_scratch_init 0
		.amdhsa_user_sgpr_private_segment_size 0
		.amdhsa_uses_dynamic_stack 0
		.amdhsa_system_sgpr_private_segment_wavefront_offset 0
		.amdhsa_system_sgpr_workgroup_id_x 1
		.amdhsa_system_sgpr_workgroup_id_y 0
		.amdhsa_system_sgpr_workgroup_id_z 0
		.amdhsa_system_sgpr_workgroup_info 0
		.amdhsa_system_vgpr_workitem_id 0
		.amdhsa_next_free_vgpr 48
		.amdhsa_next_free_sgpr 28
		.amdhsa_reserve_vcc 1
		.amdhsa_reserve_flat_scratch 0
		.amdhsa_float_round_mode_32 0
		.amdhsa_float_round_mode_16_64 0
		.amdhsa_float_denorm_mode_32 3
		.amdhsa_float_denorm_mode_16_64 3
		.amdhsa_dx10_clamp 1
		.amdhsa_ieee_mode 1
		.amdhsa_fp16_overflow 0
		.amdhsa_exception_fp_ieee_invalid_op 0
		.amdhsa_exception_fp_denorm_src 0
		.amdhsa_exception_fp_ieee_div_zero 0
		.amdhsa_exception_fp_ieee_overflow 0
		.amdhsa_exception_fp_ieee_underflow 0
		.amdhsa_exception_fp_ieee_inexact 0
		.amdhsa_exception_int_div_zero 0
	.end_amdhsa_kernel
	.text
.Lfunc_end0:
	.size	fft_rtc_back_len400_factors_4_10_10_wgs_120_tpt_40_halfLds_half_op_CI_CI_unitstride_sbrr_C2R_dirReg, .Lfunc_end0-fft_rtc_back_len400_factors_4_10_10_wgs_120_tpt_40_halfLds_half_op_CI_CI_unitstride_sbrr_C2R_dirReg
                                        ; -- End function
	.section	.AMDGPU.csdata,"",@progbits
; Kernel info:
; codeLenInByte = 6652
; NumSgprs: 32
; NumVgprs: 48
; ScratchSize: 0
; MemoryBound: 0
; FloatMode: 240
; IeeeMode: 1
; LDSByteSize: 0 bytes/workgroup (compile time only)
; SGPRBlocks: 3
; VGPRBlocks: 11
; NumSGPRsForWavesPerEU: 32
; NumVGPRsForWavesPerEU: 48
; Occupancy: 5
; WaveLimiterHint : 1
; COMPUTE_PGM_RSRC2:SCRATCH_EN: 0
; COMPUTE_PGM_RSRC2:USER_SGPR: 6
; COMPUTE_PGM_RSRC2:TRAP_HANDLER: 0
; COMPUTE_PGM_RSRC2:TGID_X_EN: 1
; COMPUTE_PGM_RSRC2:TGID_Y_EN: 0
; COMPUTE_PGM_RSRC2:TGID_Z_EN: 0
; COMPUTE_PGM_RSRC2:TIDIG_COMP_CNT: 0
	.type	__hip_cuid_45804697ed9dd4dc,@object ; @__hip_cuid_45804697ed9dd4dc
	.section	.bss,"aw",@nobits
	.globl	__hip_cuid_45804697ed9dd4dc
__hip_cuid_45804697ed9dd4dc:
	.byte	0                               ; 0x0
	.size	__hip_cuid_45804697ed9dd4dc, 1

	.ident	"AMD clang version 19.0.0git (https://github.com/RadeonOpenCompute/llvm-project roc-6.4.0 25133 c7fe45cf4b819c5991fe208aaa96edf142730f1d)"
	.section	".note.GNU-stack","",@progbits
	.addrsig
	.addrsig_sym __hip_cuid_45804697ed9dd4dc
	.amdgpu_metadata
---
amdhsa.kernels:
  - .args:
      - .actual_access:  read_only
        .address_space:  global
        .offset:         0
        .size:           8
        .value_kind:     global_buffer
      - .offset:         8
        .size:           8
        .value_kind:     by_value
      - .actual_access:  read_only
        .address_space:  global
        .offset:         16
        .size:           8
        .value_kind:     global_buffer
      - .actual_access:  read_only
        .address_space:  global
        .offset:         24
        .size:           8
        .value_kind:     global_buffer
      - .actual_access:  read_only
        .address_space:  global
        .offset:         32
        .size:           8
        .value_kind:     global_buffer
      - .offset:         40
        .size:           8
        .value_kind:     by_value
      - .actual_access:  read_only
        .address_space:  global
        .offset:         48
        .size:           8
        .value_kind:     global_buffer
      - .actual_access:  read_only
        .address_space:  global
        .offset:         56
        .size:           8
        .value_kind:     global_buffer
      - .offset:         64
        .size:           4
        .value_kind:     by_value
      - .actual_access:  read_only
        .address_space:  global
        .offset:         72
        .size:           8
        .value_kind:     global_buffer
      - .actual_access:  read_only
        .address_space:  global
        .offset:         80
        .size:           8
        .value_kind:     global_buffer
      - .actual_access:  read_only
        .address_space:  global
        .offset:         88
        .size:           8
        .value_kind:     global_buffer
      - .actual_access:  write_only
        .address_space:  global
        .offset:         96
        .size:           8
        .value_kind:     global_buffer
    .group_segment_fixed_size: 0
    .kernarg_segment_align: 8
    .kernarg_segment_size: 104
    .language:       OpenCL C
    .language_version:
      - 2
      - 0
    .max_flat_workgroup_size: 120
    .name:           fft_rtc_back_len400_factors_4_10_10_wgs_120_tpt_40_halfLds_half_op_CI_CI_unitstride_sbrr_C2R_dirReg
    .private_segment_fixed_size: 0
    .sgpr_count:     32
    .sgpr_spill_count: 0
    .symbol:         fft_rtc_back_len400_factors_4_10_10_wgs_120_tpt_40_halfLds_half_op_CI_CI_unitstride_sbrr_C2R_dirReg.kd
    .uniform_work_group_size: 1
    .uses_dynamic_stack: false
    .vgpr_count:     48
    .vgpr_spill_count: 0
    .wavefront_size: 64
amdhsa.target:   amdgcn-amd-amdhsa--gfx906
amdhsa.version:
  - 1
  - 2
...

	.end_amdgpu_metadata
